;; amdgpu-corpus repo=ROCm/rocFFT kind=compiled arch=gfx906 opt=O3
	.text
	.amdgcn_target "amdgcn-amd-amdhsa--gfx906"
	.amdhsa_code_object_version 6
	.protected	bluestein_single_back_len420_dim1_dp_op_CI_CI ; -- Begin function bluestein_single_back_len420_dim1_dp_op_CI_CI
	.globl	bluestein_single_back_len420_dim1_dp_op_CI_CI
	.p2align	8
	.type	bluestein_single_back_len420_dim1_dp_op_CI_CI,@function
bluestein_single_back_len420_dim1_dp_op_CI_CI: ; @bluestein_single_back_len420_dim1_dp_op_CI_CI
; %bb.0:
	s_load_dwordx4 s[0:3], s[4:5], 0x28
	v_mul_u32_u24_e32 v1, 0x445, v0
	v_add_u32_sdwa v124, s6, v1 dst_sel:DWORD dst_unused:UNUSED_PAD src0_sel:DWORD src1_sel:WORD_1
	v_mov_b32_e32 v125, 0
	s_waitcnt lgkmcnt(0)
	v_cmp_gt_u64_e32 vcc, s[0:1], v[124:125]
	s_and_saveexec_b64 s[0:1], vcc
	s_cbranch_execz .LBB0_23
; %bb.1:
	s_load_dwordx2 s[12:13], s[4:5], 0x0
	s_load_dwordx2 s[6:7], s[4:5], 0x38
	v_mov_b32_e32 v2, 60
	v_mul_lo_u16_sdwa v1, v1, v2 dst_sel:DWORD dst_unused:UNUSED_PAD src0_sel:WORD_1 src1_sel:DWORD
	v_sub_u16_e32 v182, v0, v1
	v_cmp_gt_u16_e64 s[0:1], 42, v182
	v_lshlrev_b32_e32 v181, 4, v182
	s_and_saveexec_b64 s[14:15], s[0:1]
	s_cbranch_execz .LBB0_3
; %bb.2:
	s_load_dwordx2 s[8:9], s[4:5], 0x18
	s_waitcnt lgkmcnt(0)
	v_mov_b32_e32 v36, s13
	s_load_dwordx4 s[8:11], s[8:9], 0x0
	s_waitcnt lgkmcnt(0)
	v_mad_u64_u32 v[0:1], s[16:17], s10, v124, 0
	v_mad_u64_u32 v[2:3], s[16:17], s8, v182, 0
	;; [unrolled: 1-line block ×4, first 2 shown]
	v_mov_b32_e32 v1, v4
	v_lshlrev_b64 v[0:1], 4, v[0:1]
	v_mov_b32_e32 v3, v5
	v_mov_b32_e32 v6, s3
	v_lshlrev_b64 v[2:3], 4, v[2:3]
	v_add_co_u32_e32 v0, vcc, s2, v0
	v_addc_co_u32_e32 v1, vcc, v6, v1, vcc
	v_add_co_u32_e32 v16, vcc, v0, v2
	s_mul_i32 s2, s9, 0x2a0
	s_mul_hi_u32 s3, s8, 0x2a0
	v_addc_co_u32_e32 v17, vcc, v1, v3, vcc
	s_add_i32 s3, s3, s2
	s_mul_i32 s2, s8, 0x2a0
	v_mov_b32_e32 v0, s3
	v_add_co_u32_e32 v18, vcc, s2, v16
	v_addc_co_u32_e32 v19, vcc, v17, v0, vcc
	global_load_dwordx4 v[0:3], v181, s[12:13]
	global_load_dwordx4 v[4:7], v181, s[12:13] offset:672
	global_load_dwordx4 v[8:11], v[16:17], off
	global_load_dwordx4 v[12:15], v[18:19], off
	v_mov_b32_e32 v16, s3
	v_add_co_u32_e32 v56, vcc, s2, v18
	v_addc_co_u32_e32 v57, vcc, v19, v16, vcc
	v_add_co_u32_e32 v37, vcc, s12, v181
	s_movk_i32 s8, 0x1000
	v_addc_co_u32_e32 v36, vcc, 0, v36, vcc
	v_add_co_u32_e32 v48, vcc, s8, v37
	v_addc_co_u32_e32 v49, vcc, 0, v36, vcc
	global_load_dwordx4 v[16:19], v181, s[12:13] offset:1344
	global_load_dwordx4 v[20:23], v181, s[12:13] offset:2016
	;; [unrolled: 1-line block ×5, first 2 shown]
	global_load_dwordx4 v[36:39], v[48:49], off offset:608
	global_load_dwordx4 v[40:43], v[48:49], off offset:1280
	;; [unrolled: 1-line block ×3, first 2 shown]
	v_mov_b32_e32 v48, s3
	v_add_co_u32_e32 v58, vcc, s2, v56
	v_addc_co_u32_e32 v59, vcc, v57, v48, vcc
	global_load_dwordx4 v[48:51], v[56:57], off
	global_load_dwordx4 v[52:55], v[58:59], off
	v_mov_b32_e32 v61, s3
	v_add_co_u32_e32 v60, vcc, s2, v58
	v_addc_co_u32_e32 v61, vcc, v59, v61, vcc
	v_mov_b32_e32 v62, s3
	v_add_co_u32_e32 v64, vcc, s2, v60
	v_addc_co_u32_e32 v65, vcc, v61, v62, vcc
	global_load_dwordx4 v[56:59], v[60:61], off
	v_mov_b32_e32 v66, s3
	global_load_dwordx4 v[60:63], v[64:65], off
	v_add_co_u32_e32 v68, vcc, s2, v64
	v_addc_co_u32_e32 v69, vcc, v65, v66, vcc
	v_mov_b32_e32 v70, s3
	v_add_co_u32_e32 v72, vcc, s2, v68
	v_addc_co_u32_e32 v73, vcc, v69, v70, vcc
	v_mov_b32_e32 v74, s3
	v_add_co_u32_e32 v76, vcc, s2, v72
	global_load_dwordx4 v[64:67], v[68:69], off
	v_addc_co_u32_e32 v77, vcc, v73, v74, vcc
	v_mov_b32_e32 v78, s3
	global_load_dwordx4 v[68:71], v[72:73], off
	s_waitcnt vmcnt(15)
	v_mul_f64 v[80:81], v[10:11], v[2:3]
	global_load_dwordx4 v[72:75], v[76:77], off
	v_add_co_u32_e32 v76, vcc, s2, v76
	v_addc_co_u32_e32 v77, vcc, v77, v78, vcc
	global_load_dwordx4 v[76:79], v[76:77], off
	v_mul_f64 v[2:3], v[8:9], v[2:3]
	s_waitcnt vmcnt(16)
	v_mul_f64 v[82:83], v[14:15], v[6:7]
	v_mul_f64 v[84:85], v[12:13], v[6:7]
	v_fma_f64 v[6:7], v[8:9], v[0:1], v[80:81]
	v_fma_f64 v[8:9], v[10:11], v[0:1], -v[2:3]
	v_fma_f64 v[0:1], v[12:13], v[4:5], v[82:83]
	v_fma_f64 v[2:3], v[14:15], v[4:5], -v[84:85]
	ds_write_b128 v181, v[6:9]
	ds_write_b128 v181, v[0:3] offset:672
	s_waitcnt vmcnt(7)
	v_mul_f64 v[86:87], v[50:51], v[18:19]
	v_mul_f64 v[18:19], v[48:49], v[18:19]
	s_waitcnt vmcnt(6)
	v_mul_f64 v[4:5], v[54:55], v[22:23]
	v_mul_f64 v[14:15], v[52:53], v[22:23]
	v_fma_f64 v[10:11], v[48:49], v[16:17], v[86:87]
	v_fma_f64 v[12:13], v[50:51], v[16:17], -v[18:19]
	s_waitcnt vmcnt(5)
	v_mul_f64 v[16:17], v[58:59], v[26:27]
	v_mul_f64 v[18:19], v[56:57], v[26:27]
	s_waitcnt vmcnt(4)
	v_mul_f64 v[22:23], v[62:63], v[30:31]
	v_mul_f64 v[26:27], v[60:61], v[30:31]
	v_fma_f64 v[0:1], v[52:53], v[20:21], v[4:5]
	v_fma_f64 v[2:3], v[54:55], v[20:21], -v[14:15]
	v_fma_f64 v[4:5], v[56:57], v[24:25], v[16:17]
	v_fma_f64 v[6:7], v[58:59], v[24:25], -v[18:19]
	;; [unrolled: 2-line block ×3, first 2 shown]
	s_waitcnt vmcnt(3)
	v_mul_f64 v[8:9], v[66:67], v[34:35]
	v_mul_f64 v[20:21], v[64:65], v[34:35]
	s_waitcnt vmcnt(2)
	v_mul_f64 v[22:23], v[70:71], v[38:39]
	v_mul_f64 v[24:25], v[68:69], v[38:39]
	v_fma_f64 v[18:19], v[64:65], v[32:33], v[8:9]
	v_fma_f64 v[20:21], v[66:67], v[32:33], -v[20:21]
	v_fma_f64 v[22:23], v[68:69], v[36:37], v[22:23]
	v_fma_f64 v[24:25], v[70:71], v[36:37], -v[24:25]
	s_waitcnt vmcnt(1)
	v_mul_f64 v[26:27], v[74:75], v[42:43]
	v_mul_f64 v[28:29], v[72:73], v[42:43]
	s_waitcnt vmcnt(0)
	v_mul_f64 v[30:31], v[78:79], v[46:47]
	v_mul_f64 v[34:35], v[76:77], v[46:47]
	v_fma_f64 v[26:27], v[72:73], v[40:41], v[26:27]
	v_fma_f64 v[28:29], v[74:75], v[40:41], -v[28:29]
	v_fma_f64 v[30:31], v[76:77], v[44:45], v[30:31]
	v_fma_f64 v[32:33], v[78:79], v[44:45], -v[34:35]
	ds_write_b128 v181, v[10:13] offset:1344
	ds_write_b128 v181, v[0:3] offset:2016
	;; [unrolled: 1-line block ×8, first 2 shown]
.LBB0_3:
	s_or_b64 exec, exec, s[14:15]
	s_load_dwordx2 s[2:3], s[4:5], 0x20
	s_load_dwordx2 s[14:15], s[4:5], 0x8
	s_waitcnt lgkmcnt(0)
	; wave barrier
	s_waitcnt lgkmcnt(0)
                                        ; implicit-def: $vgpr0_vgpr1
                                        ; implicit-def: $vgpr4_vgpr5
                                        ; implicit-def: $vgpr8_vgpr9
                                        ; implicit-def: $vgpr16_vgpr17
                                        ; implicit-def: $vgpr12_vgpr13
                                        ; implicit-def: $vgpr20_vgpr21
                                        ; implicit-def: $vgpr24_vgpr25
                                        ; implicit-def: $vgpr28_vgpr29
                                        ; implicit-def: $vgpr32_vgpr33
                                        ; implicit-def: $vgpr36_vgpr37
	s_and_saveexec_b64 s[4:5], s[0:1]
	s_cbranch_execz .LBB0_5
; %bb.4:
	ds_read_b128 v[0:3], v181
	ds_read_b128 v[4:7], v181 offset:672
	ds_read_b128 v[8:11], v181 offset:1344
	;; [unrolled: 1-line block ×9, first 2 shown]
.LBB0_5:
	s_or_b64 exec, exec, s[4:5]
	s_waitcnt lgkmcnt(0)
	v_add_f64 v[40:41], v[8:9], v[32:33]
	v_add_f64 v[46:47], v[14:15], -v[26:27]
	s_mov_b32 s8, 0x134454ff
	s_mov_b32 s9, 0x3fee6f0e
	;; [unrolled: 1-line block ×4, first 2 shown]
	v_add_f64 v[44:45], v[10:11], -v[34:35]
	v_add_f64 v[54:55], v[12:13], -v[8:9]
	v_fma_f64 v[40:41], v[40:41], -0.5, v[0:1]
	v_add_f64 v[56:57], v[24:25], -v[32:33]
	v_add_f64 v[58:59], v[10:11], v[34:35]
	s_mov_b32 s4, 0x4755a5e
	s_mov_b32 s5, 0x3fe2cf23
	;; [unrolled: 1-line block ×4, first 2 shown]
	v_add_f64 v[42:43], v[8:9], -v[12:13]
	v_fma_f64 v[60:61], v[46:47], s[16:17], v[40:41]
	v_fma_f64 v[40:41], v[46:47], s[8:9], v[40:41]
	v_add_f64 v[48:49], v[32:33], -v[24:25]
	v_add_f64 v[52:53], v[12:13], -v[24:25]
	v_add_f64 v[62:63], v[54:55], v[56:57]
	v_fma_f64 v[58:59], v[58:59], -0.5, v[2:3]
	v_add_f64 v[72:73], v[20:21], -v[16:17]
	v_add_f64 v[74:75], v[28:29], -v[36:37]
	v_fma_f64 v[56:57], v[44:45], s[4:5], v[60:61]
	v_fma_f64 v[64:65], v[44:45], s[18:19], v[40:41]
	v_add_f64 v[76:77], v[18:19], v[38:39]
	s_mov_b32 s10, 0x372fe950
	s_mov_b32 s11, 0x3fd3c6ef
	v_add_f64 v[50:51], v[8:9], -v[32:33]
	v_add_f64 v[60:61], v[16:17], v[36:37]
	v_add_f64 v[66:67], v[14:15], -v[10:11]
	v_add_f64 v[68:69], v[26:27], -v[34:35]
	v_add_f64 v[54:55], v[42:43], v[48:49]
	v_fma_f64 v[48:49], v[52:53], s[8:9], v[58:59]
	v_fma_f64 v[40:41], v[62:63], s[10:11], v[56:57]
	;; [unrolled: 1-line block ×3, first 2 shown]
	v_add_f64 v[62:63], v[10:11], -v[14:15]
	v_add_f64 v[64:65], v[34:35], -v[26:27]
	v_fma_f64 v[58:59], v[52:53], s[16:17], v[58:59]
	v_add_f64 v[84:85], v[20:21], -v[28:29]
	v_fma_f64 v[76:77], v[76:77], -0.5, v[6:7]
	v_add_f64 v[72:73], v[72:73], v[74:75]
	v_add_f64 v[74:75], v[20:21], v[28:29]
	v_add_f64 v[78:79], v[22:23], v[30:31]
	v_add_f64 v[56:57], v[22:23], -v[30:31]
	v_fma_f64 v[70:71], v[60:61], -0.5, v[4:5]
	v_fma_f64 v[48:49], v[50:51], s[18:19], v[48:49]
	v_add_f64 v[66:67], v[66:67], v[68:69]
	v_add_f64 v[60:61], v[18:19], -v[38:39]
	v_fma_f64 v[58:59], v[50:51], s[4:5], v[58:59]
	v_add_f64 v[82:83], v[62:63], v[64:65]
	v_add_f64 v[62:63], v[16:17], -v[20:21]
	v_add_f64 v[64:65], v[36:37], -v[28:29]
	;; [unrolled: 1-line block ×4, first 2 shown]
	v_fma_f64 v[88:89], v[84:85], s[8:9], v[76:77]
	v_add_f64 v[102:103], v[16:17], -v[36:37]
	v_fma_f64 v[96:97], v[74:75], -0.5, v[4:5]
	v_fma_f64 v[94:95], v[78:79], -0.5, v[6:7]
	v_fma_f64 v[68:69], v[56:57], s[16:17], v[70:71]
	v_fma_f64 v[70:71], v[56:57], s[8:9], v[70:71]
	;; [unrolled: 1-line block ×4, first 2 shown]
	v_add_f64 v[66:67], v[18:19], -v[22:23]
	v_add_f64 v[74:75], v[38:39], -v[30:31]
	v_add_f64 v[78:79], v[80:81], v[86:87]
	v_fma_f64 v[76:77], v[84:85], s[16:17], v[76:77]
	v_fma_f64 v[80:81], v[102:103], s[18:19], v[88:89]
	v_add_f64 v[98:99], v[62:63], v[64:65]
	v_fma_f64 v[62:63], v[60:61], s[16:17], v[96:97]
	v_fma_f64 v[64:65], v[102:103], s[8:9], v[94:95]
	v_add_f64 v[86:87], v[12:13], v[24:25]
	v_add_f64 v[88:89], v[14:15], v[26:27]
	v_fma_f64 v[68:69], v[60:61], s[4:5], v[68:69]
	v_fma_f64 v[70:71], v[60:61], s[18:19], v[70:71]
	;; [unrolled: 1-line block ×3, first 2 shown]
	v_add_f64 v[106:107], v[66:67], v[74:75]
	v_fma_f64 v[62:63], v[56:57], s[18:19], v[62:63]
	v_fma_f64 v[64:65], v[84:85], s[4:5], v[64:65]
	v_fma_f64 v[90:91], v[86:87], -0.5, v[0:1]
	v_fma_f64 v[92:93], v[88:89], -0.5, v[2:3]
	v_fma_f64 v[68:69], v[72:73], s[10:11], v[68:69]
	v_fma_f64 v[80:81], v[78:79], s[10:11], v[80:81]
	;; [unrolled: 1-line block ×8, first 2 shown]
	s_mov_b32 s20, 0x9b97f4a8
	s_mov_b32 s21, 0x3fe9e377
	v_mul_f64 v[72:73], v[80:81], s[8:9]
	v_mul_f64 v[74:75], v[68:69], s[16:17]
	v_mul_f64 v[78:79], v[66:67], s[10:11]
	v_mul_f64 v[88:89], v[70:71], s[10:11]
	v_mul_f64 v[104:105], v[100:101], s[20:21]
	v_mul_f64 v[108:109], v[64:65], s[20:21]
	v_fma_f64 v[110:111], v[46:47], s[18:19], v[62:63]
	v_fma_f64 v[112:113], v[52:53], s[4:5], v[76:77]
	;; [unrolled: 1-line block ×4, first 2 shown]
	v_fma_f64 v[76:77], v[70:71], s[8:9], -v[78:79]
	v_fma_f64 v[88:89], v[66:67], s[16:17], -v[88:89]
	;; [unrolled: 1-line block ×4, first 2 shown]
	v_fma_f64 v[80:81], v[54:55], s[10:11], v[110:111]
	v_fma_f64 v[104:105], v[82:83], s[10:11], v[112:113]
	v_add_f64 v[64:65], v[40:41], -v[62:63]
	v_add_f64 v[66:67], v[48:49], -v[86:87]
	;; [unrolled: 1-line block ×4, first 2 shown]
	v_mul_lo_u16_e32 v183, 10, v182
	v_add_f64 v[72:73], v[80:81], -v[78:79]
	v_add_f64 v[74:75], v[104:105], -v[100:101]
	; wave barrier
	s_and_saveexec_b64 s[16:17], s[0:1]
	s_cbranch_execz .LBB0_7
; %bb.6:
	v_mul_f64 v[60:61], v[60:61], s[8:9]
	v_mul_f64 v[56:57], v[56:57], s[4:5]
	;; [unrolled: 1-line block ×3, first 2 shown]
	v_add_f64 v[10:11], v[2:3], v[10:11]
	v_add_f64 v[6:7], v[6:7], v[18:19]
	;; [unrolled: 1-line block ×4, first 2 shown]
	v_mul_f64 v[44:45], v[44:45], s[8:9]
	v_add_f64 v[60:61], v[96:97], v[60:61]
	v_mul_f64 v[50:51], v[50:51], s[8:9]
	v_mul_f64 v[96:97], v[98:99], s[10:11]
	;; [unrolled: 1-line block ×3, first 2 shown]
	v_add_f64 v[18:19], v[94:95], -v[102:103]
	v_add_f64 v[10:11], v[10:11], v[14:15]
	v_add_f64 v[6:7], v[6:7], v[22:23]
	;; [unrolled: 1-line block ×5, first 2 shown]
	v_mul_f64 v[46:47], v[46:47], s[4:5]
	v_mul_f64 v[52:53], v[52:53], s[4:5]
	;; [unrolled: 1-line block ×3, first 2 shown]
	v_add_f64 v[8:9], v[92:93], -v[50:51]
	v_add_f64 v[14:15], v[18:19], -v[84:85]
	v_add_f64 v[18:19], v[90:91], v[44:45]
	v_add_f64 v[16:17], v[96:97], v[56:57]
	v_add_f64 v[10:11], v[10:11], v[26:27]
	v_add_f64 v[6:7], v[6:7], v[30:31]
	v_add_f64 v[0:1], v[0:1], v[24:25]
	v_add_f64 v[4:5], v[4:5], v[28:29]
	v_mul_f64 v[54:55], v[54:55], s[10:11]
	v_mul_f64 v[82:83], v[82:83], s[10:11]
	v_add_f64 v[8:9], v[8:9], -v[52:53]
	v_add_f64 v[12:13], v[98:99], v[14:15]
	v_mul_f64 v[14:15], v[16:17], s[4:5]
	v_add_f64 v[18:19], v[46:47], v[18:19]
	v_mul_f64 v[16:17], v[16:17], s[20:21]
	v_add_f64 v[20:21], v[10:11], v[34:35]
	v_add_f64 v[24:25], v[6:7], v[38:39]
	v_add_f64 v[30:31], v[0:1], v[32:33]
	v_add_f64 v[32:33], v[4:5], v[36:37]
	v_add_f64 v[8:9], v[82:83], v[8:9]
	v_fma_f64 v[22:23], v[12:13], s[20:21], -v[14:15]
	v_add_f64 v[28:29], v[54:55], v[18:19]
	v_fma_f64 v[16:17], v[12:13], s[4:5], v[16:17]
	v_add_f64 v[10:11], v[48:49], v[86:87]
	v_add_f64 v[14:15], v[20:21], -v[24:25]
	v_add_f64 v[26:27], v[20:21], v[24:25]
	v_add_f64 v[24:25], v[30:31], v[32:33]
	;; [unrolled: 1-line block ×3, first 2 shown]
	v_add_f64 v[18:19], v[8:9], -v[22:23]
	v_add_f64 v[22:23], v[8:9], v[22:23]
	v_add_f64 v[20:21], v[28:29], v[16:17]
	;; [unrolled: 1-line block ×6, first 2 shown]
	v_add_f64 v[12:13], v[30:31], -v[32:33]
	v_add_f64 v[16:17], v[28:29], -v[16:17]
	v_lshlrev_b32_e32 v28, 4, v183
	ds_write_b128 v28, v[24:27]
	ds_write_b128 v28, v[20:23] offset:16
	ds_write_b128 v28, v[8:11] offset:32
	;; [unrolled: 1-line block ×9, first 2 shown]
.LBB0_7:
	s_or_b64 exec, exec, s[16:17]
	s_load_dwordx4 s[8:11], s[2:3], 0x0
	s_movk_i32 s2, 0xcd
	v_mul_lo_u16_sdwa v0, v182, s2 dst_sel:DWORD dst_unused:UNUSED_PAD src0_sel:BYTE_0 src1_sel:DWORD
	v_lshrrev_b16_e32 v52, 11, v0
	v_mul_lo_u16_e32 v0, 10, v52
	v_sub_u16_e32 v0, v182, v0
	v_and_b32_e32 v88, 0xff, v0
	v_mul_u32_u24_e32 v0, 6, v88
	v_lshlrev_b32_e32 v16, 4, v0
	s_waitcnt lgkmcnt(0)
	; wave barrier
	s_waitcnt lgkmcnt(0)
	global_load_dwordx4 v[12:15], v16, s[14:15]
	global_load_dwordx4 v[8:11], v16, s[14:15] offset:16
	global_load_dwordx4 v[4:7], v16, s[14:15] offset:32
	;; [unrolled: 1-line block ×5, first 2 shown]
	ds_read_b128 v[16:19], v181
	ds_read_b128 v[20:23], v181 offset:960
	ds_read_b128 v[28:31], v181 offset:1920
	;; [unrolled: 1-line block ×6, first 2 shown]
	v_mul_u32_u24_e32 v89, 0x46, v52
	s_mov_b32 s4, 0x37e14327
	s_mov_b32 s2, 0x36b3c0b5
	;; [unrolled: 1-line block ×16, first 2 shown]
	v_add_lshl_u32 v184, v89, v88, 4
	s_waitcnt lgkmcnt(0)
	; wave barrier
	s_waitcnt lgkmcnt(0)
                                        ; implicit-def: $vgpr104_vgpr105
                                        ; implicit-def: $vgpr108_vgpr109
	s_waitcnt vmcnt(5) lgkmcnt(5)
	v_mul_f64 v[52:53], v[22:23], v[14:15]
	v_mul_f64 v[54:55], v[20:21], v[14:15]
	s_waitcnt vmcnt(4) lgkmcnt(4)
	v_mul_f64 v[56:57], v[30:31], v[10:11]
	v_mul_f64 v[58:59], v[28:29], v[10:11]
	;; [unrolled: 3-line block ×3, first 2 shown]
	s_waitcnt vmcnt(0)
	v_mul_f64 v[84:85], v[46:47], v[34:35]
	v_mul_f64 v[86:87], v[44:45], v[34:35]
	;; [unrolled: 1-line block ×6, first 2 shown]
	v_fma_f64 v[20:21], v[20:21], v[12:13], -v[52:53]
	v_fma_f64 v[22:23], v[22:23], v[12:13], v[54:55]
	v_fma_f64 v[28:29], v[28:29], v[8:9], -v[56:57]
	v_fma_f64 v[30:31], v[30:31], v[8:9], v[58:59]
	;; [unrolled: 2-line block ×6, first 2 shown]
	v_add_f64 v[52:53], v[20:21], v[48:49]
	v_add_f64 v[54:55], v[22:23], v[50:51]
	v_add_f64 v[20:21], v[20:21], -v[48:49]
	v_add_f64 v[22:23], v[22:23], -v[50:51]
	v_add_f64 v[48:49], v[28:29], v[44:45]
	v_add_f64 v[50:51], v[30:31], v[46:47]
	v_add_f64 v[28:29], v[28:29], -v[44:45]
	v_add_f64 v[30:31], v[30:31], -v[46:47]
	;; [unrolled: 4-line block ×4, first 2 shown]
	v_add_f64 v[52:53], v[52:53], -v[44:45]
	v_add_f64 v[54:55], v[54:55], -v[46:47]
	;; [unrolled: 1-line block ×4, first 2 shown]
	v_add_f64 v[60:61], v[36:37], v[28:29]
	v_add_f64 v[62:63], v[38:39], v[30:31]
	v_add_f64 v[76:77], v[36:37], -v[28:29]
	v_add_f64 v[78:79], v[38:39], -v[30:31]
	v_add_f64 v[40:41], v[44:45], v[40:41]
	v_add_f64 v[42:43], v[46:47], v[42:43]
	v_add_f64 v[28:29], v[28:29], -v[20:21]
	v_add_f64 v[30:31], v[30:31], -v[22:23]
	;; [unrolled: 1-line block ×4, first 2 shown]
	v_add_f64 v[20:21], v[60:61], v[20:21]
	v_add_f64 v[22:23], v[62:63], v[22:23]
	v_mul_f64 v[44:45], v[52:53], s[4:5]
	v_mul_f64 v[46:47], v[54:55], s[4:5]
	;; [unrolled: 1-line block ×6, first 2 shown]
	v_add_f64 v[16:17], v[16:17], v[40:41]
	v_add_f64 v[18:19], v[18:19], v[42:43]
	v_mul_f64 v[76:77], v[28:29], s[16:17]
	v_mul_f64 v[78:79], v[30:31], s[16:17]
	v_fma_f64 v[48:49], v[48:49], s[2:3], v[44:45]
	v_fma_f64 v[50:51], v[50:51], s[2:3], v[46:47]
	v_fma_f64 v[52:53], v[56:57], s[22:23], -v[52:53]
	v_fma_f64 v[54:55], v[58:59], s[22:23], -v[54:55]
	s_mov_b32 s23, 0xbfe77f67
	v_fma_f64 v[80:81], v[36:37], s[24:25], v[60:61]
	v_fma_f64 v[82:83], v[38:39], s[24:25], v[62:63]
	s_mov_b32 s25, 0xbfd5d0dc
	v_fma_f64 v[40:41], v[40:41], s[18:19], v[16:17]
	v_fma_f64 v[42:43], v[42:43], s[18:19], v[18:19]
	v_fma_f64 v[44:45], v[56:57], s[22:23], -v[44:45]
	v_fma_f64 v[46:47], v[58:59], s[22:23], -v[46:47]
	;; [unrolled: 1-line block ×6, first 2 shown]
	v_fma_f64 v[56:57], v[20:21], s[26:27], v[80:81]
	v_fma_f64 v[58:59], v[22:23], s[26:27], v[82:83]
	v_add_f64 v[48:49], v[48:49], v[40:41]
	v_add_f64 v[50:51], v[50:51], v[42:43]
	v_fma_f64 v[76:77], v[20:21], s[26:27], v[36:37]
	v_fma_f64 v[78:79], v[22:23], s[26:27], v[38:39]
	v_add_f64 v[44:45], v[44:45], v[40:41]
	v_add_f64 v[46:47], v[46:47], v[42:43]
	;; [unrolled: 4-line block ×3, first 2 shown]
	v_add_f64 v[20:21], v[58:59], v[48:49]
	v_add_f64 v[22:23], v[50:51], -v[56:57]
	v_add_f64 v[28:29], v[78:79], v[44:45]
	v_add_f64 v[30:31], v[46:47], -v[76:77]
	v_add_f64 v[44:45], v[44:45], -v[78:79]
	v_add_f64 v[46:47], v[76:77], v[46:47]
	v_add_f64 v[36:37], v[40:41], -v[62:63]
	v_add_f64 v[38:39], v[60:61], v[42:43]
	v_add_f64 v[40:41], v[62:63], v[40:41]
	v_add_f64 v[42:43], v[42:43], -v[60:61]
	v_add_f64 v[76:77], v[48:49], -v[58:59]
	v_add_f64 v[78:79], v[56:57], v[50:51]
	ds_write_b128 v184, v[16:19]
	ds_write_b128 v184, v[20:23] offset:160
	ds_write_b128 v184, v[28:31] offset:320
	;; [unrolled: 1-line block ×6, first 2 shown]
	s_waitcnt lgkmcnt(0)
	; wave barrier
	s_waitcnt lgkmcnt(0)
	ds_read_b128 v[80:83], v181
	ds_read_b128 v[100:103], v181 offset:1120
	ds_read_b128 v[96:99], v181 offset:2240
	;; [unrolled: 1-line block ×5, first 2 shown]
	v_cmp_gt_u16_e64 s[2:3], 10, v182
	s_and_saveexec_b64 s[4:5], s[2:3]
	s_cbranch_execz .LBB0_9
; %bb.8:
	ds_read_b128 v[76:79], v181 offset:960
	ds_read_b128 v[64:67], v181 offset:2080
	;; [unrolled: 1-line block ×6, first 2 shown]
.LBB0_9:
	s_or_b64 exec, exec, s[4:5]
	v_add_u32_e32 v16, 60, v182
	v_add_u32_e32 v17, -10, v182
	v_cndmask_b32_e64 v16, v17, v16, s[2:3]
	v_mul_hi_i32_i24_e32 v17, 0x50, v16
	v_mul_i32_i24_e32 v16, 0x50, v16
	v_mov_b32_e32 v21, s15
	s_movk_i32 s4, 0x50
	v_mov_b32_e32 v18, s15
	v_add_co_u32_e32 v112, vcc, s14, v16
	v_mov_b32_e32 v20, s14
	v_addc_co_u32_e32 v113, vcc, v18, v17, vcc
	v_mad_u64_u32 v[114:115], s[4:5], v182, s4, v[20:21]
	global_load_dwordx4 v[16:19], v[112:113], off offset:992
	global_load_dwordx4 v[28:31], v[112:113], off offset:976
	;; [unrolled: 1-line block ×10, first 2 shown]
	s_mov_b32 s4, 0xe8584caa
	s_mov_b32 s5, 0x3febb67a
	;; [unrolled: 1-line block ×4, first 2 shown]
	s_waitcnt vmcnt(7) lgkmcnt(1)
	v_mul_f64 v[120:121], v[106:107], v[22:23]
	v_mul_f64 v[122:123], v[104:105], v[22:23]
	s_waitcnt vmcnt(5)
	v_mul_f64 v[129:130], v[102:103], v[46:47]
	v_mul_f64 v[131:132], v[100:101], v[46:47]
	s_waitcnt vmcnt(4)
	v_mul_f64 v[133:134], v[98:99], v[62:63]
	v_mul_f64 v[135:136], v[96:97], v[62:63]
	;; [unrolled: 1-line block ×3, first 2 shown]
	s_waitcnt vmcnt(3)
	v_mul_f64 v[137:138], v[94:95], v[50:51]
	v_mul_f64 v[139:140], v[92:93], v[50:51]
	s_waitcnt vmcnt(2)
	v_mul_f64 v[141:142], v[90:91], v[58:59]
	v_mul_f64 v[143:144], v[88:89], v[58:59]
	s_waitcnt vmcnt(1) lgkmcnt(0)
	v_mul_f64 v[145:146], v[86:87], v[54:55]
	v_mul_f64 v[147:148], v[84:85], v[54:55]
	;; [unrolled: 1-line block ×7, first 2 shown]
	s_waitcnt vmcnt(0)
	v_mul_f64 v[149:150], v[66:67], v[42:43]
	v_mul_f64 v[151:152], v[64:65], v[42:43]
	v_fma_f64 v[68:69], v[68:69], v[28:29], -v[112:113]
	v_fma_f64 v[104:105], v[104:105], v[20:21], -v[120:121]
	;; [unrolled: 1-line block ×3, first 2 shown]
	v_fma_f64 v[102:103], v[102:103], v[44:45], v[131:132]
	v_fma_f64 v[96:97], v[96:97], v[60:61], -v[133:134]
	v_fma_f64 v[98:99], v[98:99], v[60:61], v[135:136]
	v_fma_f64 v[92:93], v[92:93], v[48:49], -v[137:138]
	;; [unrolled: 2-line block ×4, first 2 shown]
	v_fma_f64 v[86:87], v[86:87], v[52:53], v[147:148]
	v_fma_f64 v[70:71], v[70:71], v[28:29], v[114:115]
	v_fma_f64 v[72:73], v[72:73], v[16:17], -v[116:117]
	v_fma_f64 v[74:75], v[74:75], v[16:17], v[118:119]
	v_fma_f64 v[108:109], v[108:109], v[36:37], -v[125:126]
	;; [unrolled: 2-line block ×3, first 2 shown]
	v_fma_f64 v[66:67], v[66:67], v[40:41], v[151:152]
	v_add_f64 v[114:115], v[68:69], v[104:105]
	v_add_f64 v[129:130], v[80:81], v[96:97]
	;; [unrolled: 1-line block ×3, first 2 shown]
	v_add_f64 v[133:134], v[98:99], -v[90:91]
	v_add_f64 v[135:136], v[82:83], v[98:99]
	v_add_f64 v[98:99], v[98:99], v[90:91]
	;; [unrolled: 1-line block ×4, first 2 shown]
	v_add_f64 v[141:142], v[94:95], -v[86:87]
	v_add_f64 v[143:144], v[102:103], v[94:95]
	v_add_f64 v[94:95], v[94:95], v[86:87]
	v_fma_f64 v[106:107], v[106:107], v[20:21], v[122:123]
	v_add_f64 v[112:113], v[76:77], v[68:69]
	v_add_f64 v[120:121], v[72:73], v[108:109]
	v_add_f64 v[122:123], v[74:75], -v[110:111]
	v_add_f64 v[125:126], v[74:75], v[110:111]
	v_add_f64 v[127:128], v[72:73], -v[108:109]
	v_add_f64 v[96:97], v[96:97], -v[88:89]
	;; [unrolled: 1-line block ×3, first 2 shown]
	v_add_f64 v[145:146], v[64:65], v[72:73]
	v_add_f64 v[147:148], v[66:67], v[74:75]
	v_fma_f64 v[72:73], v[114:115], -0.5, v[76:77]
	v_add_f64 v[76:77], v[129:130], v[88:89]
	v_fma_f64 v[74:75], v[131:132], -0.5, v[80:81]
	v_fma_f64 v[80:81], v[98:99], -0.5, v[82:83]
	v_add_f64 v[82:83], v[137:138], v[84:85]
	v_fma_f64 v[84:85], v[139:140], -0.5, v[100:101]
	v_fma_f64 v[88:89], v[94:95], -0.5, v[102:103]
	v_add_f64 v[116:117], v[70:71], -v[106:107]
	v_add_f64 v[118:119], v[78:79], v[70:71]
	v_add_f64 v[70:71], v[70:71], v[106:107]
	v_fma_f64 v[64:65], v[120:121], -0.5, v[64:65]
	v_fma_f64 v[66:67], v[125:126], -0.5, v[66:67]
	v_add_f64 v[68:69], v[68:69], -v[104:105]
	v_fma_f64 v[100:101], v[141:142], s[14:15], v[84:85]
	v_fma_f64 v[98:99], v[92:93], s[14:15], v[88:89]
	;; [unrolled: 1-line block ×4, first 2 shown]
	v_fma_f64 v[70:71], v[70:71], -0.5, v[78:79]
	v_add_f64 v[114:115], v[118:119], v[106:107]
	v_add_f64 v[78:79], v[135:136], v[90:91]
	v_fma_f64 v[90:91], v[122:123], s[4:5], v[64:65]
	v_fma_f64 v[64:65], v[122:123], s[14:15], v[64:65]
	v_fma_f64 v[94:95], v[127:128], s[14:15], v[66:67]
	v_fma_f64 v[66:67], v[127:128], s[4:5], v[66:67]
	v_mul_f64 v[106:107], v[98:99], s[4:5]
	v_mul_f64 v[120:121], v[100:101], -0.5
	v_mul_f64 v[122:123], v[84:85], s[14:15]
	v_mul_f64 v[125:126], v[88:89], -0.5
	v_fma_f64 v[92:93], v[133:134], s[4:5], v[74:75]
	v_fma_f64 v[102:103], v[133:134], s[14:15], v[74:75]
	v_mul_f64 v[127:128], v[90:91], s[14:15]
	v_mul_f64 v[129:130], v[66:67], -0.5
	v_fma_f64 v[106:107], v[84:85], 0.5, v[106:107]
	v_fma_f64 v[120:121], v[88:89], s[4:5], v[120:121]
	v_fma_f64 v[98:99], v[98:99], 0.5, v[122:123]
	v_fma_f64 v[100:101], v[100:101], s[14:15], v[125:126]
	v_mul_f64 v[122:123], v[94:95], s[4:5]
	v_mul_f64 v[125:126], v[64:65], -0.5
	v_add_f64 v[112:113], v[112:113], v[104:105]
	v_add_f64 v[86:87], v[143:144], v[86:87]
	v_fma_f64 v[118:119], v[116:117], s[4:5], v[72:73]
	v_fma_f64 v[116:117], v[116:117], s[14:15], v[72:73]
	;; [unrolled: 1-line block ×4, first 2 shown]
	v_add_f64 v[72:73], v[76:77], v[82:83]
	v_add_f64 v[80:81], v[76:77], -v[82:83]
	v_add_f64 v[76:77], v[92:93], v[106:107]
	v_add_f64 v[84:85], v[102:103], v[120:121]
	v_add_f64 v[88:89], v[92:93], -v[106:107]
	v_add_f64 v[92:93], v[102:103], -v[120:121]
	v_fma_f64 v[120:121], v[68:69], s[14:15], v[70:71]
	v_fma_f64 v[70:71], v[68:69], s[4:5], v[70:71]
	v_add_f64 v[68:69], v[145:146], v[108:109]
	v_fma_f64 v[108:109], v[90:91], 0.5, v[122:123]
	v_fma_f64 v[66:67], v[66:67], s[4:5], v[125:126]
	v_add_f64 v[110:111], v[147:148], v[110:111]
	v_fma_f64 v[122:123], v[94:95], 0.5, v[127:128]
	v_fma_f64 v[125:126], v[64:65], s[14:15], v[129:130]
	v_add_f64 v[74:75], v[78:79], v[86:87]
	v_add_f64 v[82:83], v[78:79], -v[86:87]
	v_add_f64 v[78:79], v[104:105], v[98:99]
	v_add_f64 v[86:87], v[96:97], v[100:101]
	v_add_f64 v[90:91], v[104:105], -v[98:99]
	v_add_f64 v[94:95], v[96:97], -v[100:101]
	v_add_f64 v[96:97], v[112:113], v[68:69]
	v_add_f64 v[104:105], v[118:119], v[108:109]
	v_add_f64 v[100:101], v[116:117], v[66:67]
	v_add_f64 v[98:99], v[114:115], v[110:111]
	v_add_f64 v[106:107], v[120:121], v[122:123]
	v_add_f64 v[102:103], v[70:71], v[125:126]
	v_add_f64 v[112:113], v[112:113], -v[68:69]
	v_add_f64 v[64:65], v[118:119], -v[108:109]
	;; [unrolled: 1-line block ×6, first 2 shown]
	ds_write_b128 v181, v[72:75]
	ds_write_b128 v181, v[76:79] offset:1120
	ds_write_b128 v181, v[84:87] offset:2240
	;; [unrolled: 1-line block ×5, first 2 shown]
	s_and_saveexec_b64 s[4:5], s[2:3]
	s_cbranch_execz .LBB0_11
; %bb.10:
	ds_write_b128 v181, v[96:99] offset:960
	ds_write_b128 v181, v[104:107] offset:2080
	;; [unrolled: 1-line block ×6, first 2 shown]
.LBB0_11:
	s_or_b64 exec, exec, s[4:5]
	s_waitcnt lgkmcnt(0)
	; wave barrier
	s_waitcnt lgkmcnt(0)
	s_and_saveexec_b64 s[14:15], s[0:1]
	s_cbranch_execz .LBB0_13
; %bb.12:
	v_mov_b32_e32 v108, s13
	v_add_co_u32_e32 v137, vcc, s12, v181
	s_movk_i32 s4, 0x2000
	v_addc_co_u32_e32 v146, vcc, 0, v108, vcc
	v_add_co_u32_e64 v149, s[4:5], s4, v137
	v_add_co_u32_e32 v133, vcc, 0x1a40, v137
	v_addc_co_u32_e64 v150, s[4:5], 0, v146, s[4:5]
	v_addc_co_u32_e32 v134, vcc, 0, v146, vcc
	s_movk_i32 s4, 0x3000
	global_load_dwordx4 v[108:111], v[133:134], off offset:672
	global_load_dwordx4 v[116:119], v[133:134], off offset:1344
	;; [unrolled: 1-line block ×5, first 2 shown]
	s_nop 0
	global_load_dwordx4 v[133:136], v[133:134], off offset:4032
	v_add_co_u32_e64 v141, s[4:5], s4, v137
	v_add_co_u32_e32 v145, vcc, 0x1000, v137
	v_addc_co_u32_e64 v142, s[4:5], 0, v146, s[4:5]
	global_load_dwordx4 v[137:140], v[149:150], off offset:3904
	s_nop 0
	global_load_dwordx4 v[141:144], v[141:142], off offset:480
	v_addc_co_u32_e32 v146, vcc, 0, v146, vcc
	global_load_dwordx4 v[145:148], v[145:146], off offset:2624
	s_nop 0
	global_load_dwordx4 v[149:152], v[149:150], off offset:3232
	ds_read_b128 v[153:156], v181
	ds_read_b128 v[157:160], v181 offset:672
	ds_read_b128 v[161:164], v181 offset:1344
	;; [unrolled: 1-line block ×9, first 2 shown]
	s_waitcnt vmcnt(9) lgkmcnt(8)
	v_mul_f64 v[197:198], v[159:160], v[110:111]
	v_mul_f64 v[110:111], v[157:158], v[110:111]
	s_waitcnt vmcnt(8) lgkmcnt(7)
	v_mul_f64 v[199:200], v[163:164], v[118:119]
	v_mul_f64 v[118:119], v[161:162], v[118:119]
	;; [unrolled: 3-line block ×8, first 2 shown]
	s_waitcnt vmcnt(1)
	v_mul_f64 v[213:214], v[155:156], v[147:148]
	v_mul_f64 v[147:148], v[153:154], v[147:148]
	s_waitcnt vmcnt(0)
	v_mul_f64 v[215:216], v[187:188], v[151:152]
	v_mul_f64 v[151:152], v[185:186], v[151:152]
	v_fma_f64 v[157:158], v[157:158], v[108:109], -v[197:198]
	v_fma_f64 v[159:160], v[159:160], v[108:109], v[110:111]
	v_fma_f64 v[108:109], v[161:162], v[116:117], -v[199:200]
	v_fma_f64 v[110:111], v[163:164], v[116:117], v[118:119]
	;; [unrolled: 2-line block ×10, first 2 shown]
	ds_write_b128 v181, v[157:160] offset:672
	ds_write_b128 v181, v[108:111] offset:1344
	;; [unrolled: 1-line block ×7, first 2 shown]
	ds_write_b128 v181, v[141:144]
	ds_write_b128 v181, v[145:148] offset:4704
	ds_write_b128 v181, v[137:140] offset:6048
.LBB0_13:
	s_or_b64 exec, exec, s[14:15]
	s_waitcnt lgkmcnt(0)
	; wave barrier
	s_waitcnt lgkmcnt(0)
	s_and_saveexec_b64 s[4:5], s[0:1]
	s_cbranch_execz .LBB0_15
; %bb.14:
	ds_read_b128 v[72:75], v181
	ds_read_b128 v[76:79], v181 offset:672
	ds_read_b128 v[84:87], v181 offset:1344
	;; [unrolled: 1-line block ×9, first 2 shown]
.LBB0_15:
	s_or_b64 exec, exec, s[4:5]
	s_waitcnt lgkmcnt(3)
	v_add_f64 v[108:109], v[88:89], v[96:97]
	s_waitcnt lgkmcnt(1)
	v_add_f64 v[110:111], v[84:85], v[100:101]
	v_add_f64 v[133:134], v[86:87], -v[102:103]
	v_add_f64 v[137:138], v[90:91], -v[98:99]
	;; [unrolled: 1-line block ×3, first 2 shown]
	v_add_f64 v[120:121], v[90:91], v[98:99]
	s_mov_b32 s14, 0x134454ff
	s_mov_b32 s15, 0x3fee6f0e
	v_fma_f64 v[125:126], v[108:109], -0.5, v[72:73]
	v_add_f64 v[108:109], v[84:85], -v[88:89]
	v_fma_f64 v[110:111], v[110:111], -0.5, v[72:73]
	s_mov_b32 s17, 0xbfee6f0e
	s_mov_b32 s16, s14
	v_add_f64 v[118:119], v[88:89], -v[84:85]
	v_add_f64 v[122:123], v[96:97], -v[100:101]
	;; [unrolled: 1-line block ×3, first 2 shown]
	v_fma_f64 v[127:128], v[133:134], s[14:15], v[125:126]
	v_fma_f64 v[135:136], v[120:121], -0.5, v[74:75]
	v_add_f64 v[145:146], v[108:109], v[116:117]
	v_fma_f64 v[108:109], v[137:138], s[14:15], v[110:111]
	v_fma_f64 v[110:111], v[137:138], s[16:17], v[110:111]
	s_mov_b32 s4, 0x4755a5e
	s_mov_b32 s5, 0x3fe2cf23
	;; [unrolled: 1-line block ×4, first 2 shown]
	v_add_f64 v[129:130], v[86:87], v[102:103]
	v_fma_f64 v[116:117], v[137:138], s[4:5], v[127:128]
	v_add_f64 v[143:144], v[88:89], -v[96:97]
	v_add_f64 v[120:121], v[86:87], -v[90:91]
	v_add_f64 v[127:128], v[102:103], -v[98:99]
	v_fma_f64 v[131:132], v[141:142], s[16:17], v[135:136]
	v_fma_f64 v[108:109], v[133:134], s[20:21], v[108:109]
	v_add_f64 v[118:119], v[118:119], v[122:123]
	v_fma_f64 v[110:111], v[133:134], s[4:5], v[110:111]
	v_add_f64 v[151:152], v[92:93], v[104:105]
	s_mov_b32 s18, 0x372fe950
	s_mov_b32 s19, 0x3fd3c6ef
	v_fma_f64 v[149:150], v[129:130], -0.5, v[74:75]
	v_add_f64 v[147:148], v[120:121], v[127:128]
	v_fma_f64 v[120:121], v[143:144], s[20:21], v[131:132]
	v_fma_f64 v[129:130], v[118:119], s[18:19], v[108:109]
	;; [unrolled: 1-line block ×3, first 2 shown]
	v_fma_f64 v[155:156], v[151:152], -0.5, v[76:77]
	s_waitcnt lgkmcnt(0)
	v_add_f64 v[118:119], v[82:83], v[114:115]
	v_add_f64 v[151:152], v[94:95], v[106:107]
	v_fma_f64 v[122:123], v[143:144], s[16:17], v[149:150]
	v_add_f64 v[110:111], v[80:81], v[112:113]
	v_add_f64 v[169:170], v[92:93], -v[104:105]
	v_add_f64 v[177:178], v[80:81], -v[112:113]
	v_fma_f64 v[139:140], v[147:148], s[18:19], v[120:121]
	v_add_f64 v[120:121], v[80:81], -v[92:93]
	v_fma_f64 v[118:119], v[118:119], -0.5, v[78:79]
	v_fma_f64 v[171:172], v[151:152], -0.5, v[78:79]
	v_fma_f64 v[108:109], v[141:142], s[4:5], v[122:123]
	v_add_f64 v[122:123], v[112:113], -v[104:105]
	v_add_f64 v[175:176], v[94:95], -v[106:107]
	v_fma_f64 v[110:111], v[110:111], -0.5, v[76:77]
	v_add_f64 v[159:160], v[94:95], -v[82:83]
	v_add_f64 v[161:162], v[106:107], -v[114:115]
	v_fma_f64 v[157:158], v[169:170], s[16:17], v[118:119]
	v_fma_f64 v[118:119], v[169:170], s[14:15], v[118:119]
	v_add_f64 v[163:164], v[82:83], -v[94:95]
	v_add_f64 v[167:168], v[114:115], -v[106:107]
	v_fma_f64 v[185:186], v[177:178], s[16:17], v[171:172]
	v_add_f64 v[165:166], v[82:83], -v[114:115]
	v_fma_f64 v[127:128], v[145:146], s[18:19], v[116:117]
	v_add_f64 v[116:117], v[90:91], -v[86:87]
	v_add_f64 v[153:154], v[98:99], -v[102:103]
	v_add_f64 v[173:174], v[120:121], v[122:123]
	v_fma_f64 v[122:123], v[175:176], s[14:15], v[110:111]
	v_add_f64 v[151:152], v[92:93], -v[80:81]
	v_add_f64 v[187:188], v[104:105], -v[112:113]
	v_fma_f64 v[110:111], v[175:176], s[16:17], v[110:111]
	v_fma_f64 v[157:158], v[177:178], s[4:5], v[157:158]
	v_add_f64 v[159:160], v[159:160], v[161:162]
	v_fma_f64 v[118:119], v[177:178], s[20:21], v[118:119]
	v_add_f64 v[179:180], v[163:164], v[167:168]
	v_fma_f64 v[161:162], v[169:170], s[20:21], v[185:186]
	v_fma_f64 v[120:121], v[165:166], s[14:15], v[155:156]
	;; [unrolled: 1-line block ×4, first 2 shown]
	v_add_f64 v[151:152], v[151:152], v[187:188]
	v_fma_f64 v[110:111], v[165:166], s[4:5], v[110:111]
	v_fma_f64 v[157:158], v[159:160], s[18:19], v[157:158]
	;; [unrolled: 1-line block ×3, first 2 shown]
	v_add_f64 v[116:117], v[116:117], v[153:154]
	v_fma_f64 v[153:154], v[179:180], s[18:19], v[161:162]
	v_fma_f64 v[120:121], v[175:176], s[4:5], v[120:121]
	;; [unrolled: 1-line block ×5, first 2 shown]
	v_mul_f64 v[151:152], v[157:158], s[16:17]
	v_mul_f64 v[159:160], v[118:119], s[16:17]
	s_mov_b32 s17, 0xbfd3c6ef
	s_mov_b32 s16, s18
	v_mul_f64 v[163:164], v[153:154], s[20:21]
	s_mov_b32 s21, 0xbfe9e377
	s_mov_b32 s20, 0x9b97f4a8
	v_fma_f64 v[120:121], v[173:174], s[18:19], v[120:121]
	v_mul_f64 v[167:168], v[157:158], s[18:19]
	v_mul_f64 v[118:119], v[118:119], s[16:17]
	;; [unrolled: 1-line block ×3, first 2 shown]
	v_fma_f64 v[157:158], v[116:117], s[18:19], v[108:109]
	v_fma_f64 v[161:162], v[116:117], s[18:19], v[149:150]
	;; [unrolled: 1-line block ×8, first 2 shown]
	s_waitcnt lgkmcnt(0)
	; wave barrier
	v_add_f64 v[108:109], v[129:130], -v[149:150]
	v_add_f64 v[116:117], v[131:132], -v[151:152]
	v_add_f64 v[120:121], v[127:128], -v[153:154]
	v_add_f64 v[110:111], v[157:158], -v[159:160]
	v_add_f64 v[118:119], v[161:162], -v[163:164]
	v_add_f64 v[122:123], v[139:140], -v[167:168]
	s_and_saveexec_b64 s[16:17], s[0:1]
	s_cbranch_execz .LBB0_17
; %bb.16:
	v_mul_f64 v[165:166], v[165:166], s[14:15]
	v_mul_f64 v[177:178], v[177:178], s[14:15]
	;; [unrolled: 1-line block ×4, first 2 shown]
	v_add_f64 v[74:75], v[74:75], v[86:87]
	v_add_f64 v[78:79], v[78:79], v[82:83]
	;; [unrolled: 1-line block ×4, first 2 shown]
	v_add_f64 v[155:156], v[155:156], -v[165:166]
	v_add_f64 v[171:172], v[171:172], v[177:178]
	v_mul_f64 v[133:134], v[133:134], s[14:15]
	v_mul_f64 v[141:142], v[141:142], s[14:15]
	;; [unrolled: 1-line block ×4, first 2 shown]
	v_add_f64 v[74:75], v[74:75], v[90:91]
	v_add_f64 v[78:79], v[78:79], v[94:95]
	v_add_f64 v[82:83], v[155:156], -v[175:176]
	v_add_f64 v[84:85], v[169:170], v[171:172]
	v_add_f64 v[72:73], v[72:73], v[88:89]
	;; [unrolled: 1-line block ×3, first 2 shown]
	v_mul_f64 v[137:138], v[137:138], s[4:5]
	v_mul_f64 v[143:144], v[143:144], s[4:5]
	v_add_f64 v[80:81], v[135:136], v[141:142]
	v_add_f64 v[86:87], v[125:126], -v[133:134]
	v_add_f64 v[82:83], v[165:166], v[82:83]
	v_add_f64 v[84:85], v[173:174], v[84:85]
	;; [unrolled: 1-line block ×6, first 2 shown]
	v_mul_f64 v[145:146], v[145:146], s[18:19]
	v_mul_f64 v[147:148], v[147:148], s[18:19]
	v_add_f64 v[80:81], v[143:144], v[80:81]
	v_mul_f64 v[88:89], v[82:83], s[4:5]
	v_add_f64 v[86:87], v[86:87], -v[137:138]
	v_mul_f64 v[90:91], v[84:85], s[4:5]
	s_mov_b32 s21, 0x3fe9e377
	v_add_f64 v[92:93], v[74:75], v[102:103]
	v_add_f64 v[96:97], v[78:79], v[114:115]
	;; [unrolled: 1-line block ×5, first 2 shown]
	v_fma_f64 v[84:85], v[84:85], s[20:21], v[88:89]
	v_add_f64 v[102:103], v[145:146], v[86:87]
	v_fma_f64 v[106:107], v[82:83], s[20:21], -v[90:91]
	v_add_f64 v[90:91], v[157:158], v[159:160]
	v_add_f64 v[82:83], v[92:93], -v[96:97]
	v_add_f64 v[98:99], v[92:93], v[96:97]
	v_add_f64 v[96:97], v[100:101], v[104:105]
	;; [unrolled: 1-line block ×9, first 2 shown]
	v_add_f64 v[86:87], v[80:81], -v[84:85]
	v_add_f64 v[80:81], v[100:101], -v[104:105]
	;; [unrolled: 1-line block ×3, first 2 shown]
	v_lshlrev_b32_e32 v100, 4, v183
	ds_write_b128 v100, v[96:99]
	ds_write_b128 v100, v[92:95] offset:16
	ds_write_b128 v100, v[88:91] offset:32
	;; [unrolled: 1-line block ×9, first 2 shown]
.LBB0_17:
	s_or_b64 exec, exec, s[16:17]
	s_waitcnt lgkmcnt(0)
	; wave barrier
	s_waitcnt lgkmcnt(0)
	ds_read_b128 v[72:75], v181 offset:960
	ds_read_b128 v[76:79], v181 offset:1920
	;; [unrolled: 1-line block ×3, first 2 shown]
	ds_read_b128 v[84:87], v181
	ds_read_b128 v[88:91], v181 offset:3840
	ds_read_b128 v[92:95], v181 offset:4800
	;; [unrolled: 1-line block ×3, first 2 shown]
	s_mov_b32 s4, 0x37e14327
	s_waitcnt lgkmcnt(6)
	v_mul_f64 v[100:101], v[14:15], v[74:75]
	v_mul_f64 v[14:15], v[14:15], v[72:73]
	s_waitcnt lgkmcnt(5)
	v_mul_f64 v[102:103], v[10:11], v[78:79]
	v_mul_f64 v[10:11], v[10:11], v[76:77]
	s_mov_b32 s5, 0x3fe948f6
	s_mov_b32 s14, 0xe976ee23
	;; [unrolled: 1-line block ×4, first 2 shown]
	v_fma_f64 v[72:73], v[12:13], v[72:73], v[100:101]
	v_fma_f64 v[12:13], v[12:13], v[74:75], -v[14:15]
	v_fma_f64 v[14:15], v[8:9], v[76:77], v[102:103]
	v_fma_f64 v[8:9], v[8:9], v[78:79], -v[10:11]
	s_waitcnt lgkmcnt(0)
	v_mul_f64 v[10:11], v[26:27], v[98:99]
	v_mul_f64 v[26:27], v[26:27], v[96:97]
	;; [unrolled: 1-line block ×8, first 2 shown]
	v_fma_f64 v[10:11], v[24:25], v[96:97], v[10:11]
	v_fma_f64 v[24:25], v[24:25], v[98:99], -v[26:27]
	v_fma_f64 v[26:27], v[4:5], v[80:81], v[74:75]
	v_fma_f64 v[4:5], v[4:5], v[82:83], -v[6:7]
	;; [unrolled: 2-line block ×4, first 2 shown]
	v_add_f64 v[2:3], v[72:73], v[10:11]
	v_add_f64 v[74:75], v[12:13], v[24:25]
	v_add_f64 v[10:11], v[72:73], -v[10:11]
	v_add_f64 v[12:13], v[12:13], -v[24:25]
	v_add_f64 v[24:25], v[14:15], v[6:7]
	v_add_f64 v[72:73], v[8:9], v[32:33]
	v_add_f64 v[6:7], v[14:15], -v[6:7]
	v_add_f64 v[8:9], v[8:9], -v[32:33]
	;; [unrolled: 4-line block ×4, first 2 shown]
	v_add_f64 v[2:3], v[2:3], -v[14:15]
	v_add_f64 v[74:75], v[74:75], -v[32:33]
	;; [unrolled: 1-line block ×4, first 2 shown]
	v_add_f64 v[80:81], v[26:27], v[6:7]
	v_add_f64 v[82:83], v[0:1], v[8:9]
	v_add_f64 v[88:89], v[26:27], -v[6:7]
	v_add_f64 v[90:91], v[0:1], -v[8:9]
	v_add_f64 v[14:15], v[14:15], v[4:5]
	v_add_f64 v[32:33], v[32:33], v[34:35]
	v_add_f64 v[34:35], v[6:7], -v[10:11]
	v_add_f64 v[8:9], v[8:9], -v[12:13]
	v_mul_f64 v[2:3], v[2:3], s[4:5]
	v_mul_f64 v[74:75], v[74:75], s[4:5]
	s_mov_b32 s4, 0x36b3c0b5
	s_mov_b32 s5, 0x3fac98ee
	v_add_f64 v[26:27], v[10:11], -v[26:27]
	v_add_f64 v[0:1], v[12:13], -v[0:1]
	v_add_f64 v[10:11], v[80:81], v[10:11]
	v_add_f64 v[12:13], v[82:83], v[12:13]
	v_mul_f64 v[80:81], v[24:25], s[4:5]
	v_mul_f64 v[82:83], v[72:73], s[4:5]
	v_add_f64 v[4:5], v[84:85], v[14:15]
	v_add_f64 v[6:7], v[86:87], v[32:33]
	v_mul_f64 v[84:85], v[88:89], s[14:15]
	v_mul_f64 v[86:87], v[90:91], s[14:15]
	s_mov_b32 s14, 0x429ad128
	s_mov_b32 s15, 0xbfebfeb5
	v_mul_f64 v[88:89], v[34:35], s[14:15]
	v_mul_f64 v[90:91], v[8:9], s[14:15]
	v_fma_f64 v[24:25], v[24:25], s[4:5], v[2:3]
	v_fma_f64 v[72:73], v[72:73], s[4:5], v[74:75]
	s_mov_b32 s5, 0x3fe77f67
	s_mov_b32 s4, 0x5476071b
	v_fma_f64 v[80:81], v[76:77], s[4:5], -v[80:81]
	v_fma_f64 v[82:83], v[78:79], s[4:5], -v[82:83]
	s_mov_b32 s5, 0xbfe77f67
	s_mov_b32 s17, 0xbff2aaaa
	v_fma_f64 v[2:3], v[76:77], s[4:5], -v[2:3]
	v_fma_f64 v[74:75], v[78:79], s[4:5], -v[74:75]
	s_mov_b32 s5, 0xbfd5d0dc
	s_mov_b32 s4, 0xb247c609
	v_fma_f64 v[14:15], v[14:15], s[16:17], v[4:5]
	v_fma_f64 v[32:33], v[32:33], s[16:17], v[6:7]
	;; [unrolled: 1-line block ×4, first 2 shown]
	s_mov_b32 s5, 0x3fd5d0dc
	v_fma_f64 v[26:27], v[26:27], s[4:5], -v[88:89]
	v_fma_f64 v[0:1], v[0:1], s[4:5], -v[90:91]
	;; [unrolled: 1-line block ×4, first 2 shown]
	s_mov_b32 s4, 0x37c3f68c
	s_mov_b32 s5, 0xbfdc38aa
	v_add_f64 v[84:85], v[24:25], v[14:15]
	v_add_f64 v[86:87], v[72:73], v[32:33]
	v_fma_f64 v[78:79], v[12:13], s[4:5], v[78:79]
	v_fma_f64 v[76:77], v[10:11], s[4:5], v[76:77]
	v_add_f64 v[72:73], v[80:81], v[14:15]
	v_add_f64 v[80:81], v[82:83], v[32:33]
	;; [unrolled: 1-line block ×4, first 2 shown]
	v_fma_f64 v[0:1], v[12:13], s[4:5], v[0:1]
	v_fma_f64 v[82:83], v[10:11], s[4:5], v[26:27]
	;; [unrolled: 1-line block ×4, first 2 shown]
	v_add_f64 v[8:9], v[78:79], v[84:85]
	v_add_f64 v[10:11], v[86:87], -v[76:77]
	s_waitcnt lgkmcnt(0)
	; wave barrier
	v_add_f64 v[12:13], v[0:1], v[2:3]
	v_add_f64 v[14:15], v[74:75], -v[82:83]
	v_add_f64 v[24:25], v[72:73], -v[32:33]
	v_add_f64 v[26:27], v[34:35], v[80:81]
	v_add_f64 v[32:33], v[32:33], v[72:73]
	v_add_f64 v[34:35], v[80:81], -v[34:35]
	v_add_f64 v[72:73], v[2:3], -v[0:1]
	v_add_f64 v[74:75], v[82:83], v[74:75]
	v_add_f64 v[0:1], v[84:85], -v[78:79]
	v_add_f64 v[2:3], v[76:77], v[86:87]
	ds_write_b128 v184, v[4:7]
	ds_write_b128 v184, v[8:11] offset:160
	ds_write_b128 v184, v[12:15] offset:320
	;; [unrolled: 1-line block ×6, first 2 shown]
	s_waitcnt lgkmcnt(0)
	; wave barrier
	s_waitcnt lgkmcnt(0)
	ds_read_b128 v[4:7], v181
	ds_read_b128 v[8:11], v181 offset:1120
	ds_read_b128 v[32:35], v181 offset:2240
	;; [unrolled: 1-line block ×5, first 2 shown]
	s_and_saveexec_b64 s[4:5], s[2:3]
	s_cbranch_execz .LBB0_19
; %bb.18:
	ds_read_b128 v[0:3], v181 offset:960
	ds_read_b128 v[108:111], v181 offset:2080
	;; [unrolled: 1-line block ×6, first 2 shown]
.LBB0_19:
	s_or_b64 exec, exec, s[4:5]
	s_waitcnt lgkmcnt(3)
	v_mul_f64 v[76:77], v[62:63], v[34:35]
	s_waitcnt lgkmcnt(1)
	v_mul_f64 v[78:79], v[58:59], v[74:75]
	v_mul_f64 v[80:81], v[50:51], v[12:13]
	s_waitcnt lgkmcnt(0)
	v_mul_f64 v[82:83], v[54:55], v[24:25]
	v_mul_f64 v[62:63], v[62:63], v[32:33]
	;; [unrolled: 1-line block ×5, first 2 shown]
	v_fma_f64 v[32:33], v[60:61], v[32:33], v[76:77]
	v_fma_f64 v[72:73], v[56:57], v[72:73], v[78:79]
	v_mul_f64 v[76:77], v[46:47], v[8:9]
	v_fma_f64 v[14:15], v[48:49], v[14:15], -v[80:81]
	v_fma_f64 v[26:27], v[52:53], v[26:27], -v[82:83]
	;; [unrolled: 1-line block ×4, first 2 shown]
	v_mul_f64 v[46:47], v[46:47], v[10:11]
	v_fma_f64 v[12:13], v[48:49], v[12:13], v[50:51]
	v_add_f64 v[58:59], v[32:33], v[72:73]
	v_fma_f64 v[10:11], v[44:45], v[10:11], -v[76:77]
	v_fma_f64 v[24:25], v[52:53], v[24:25], v[54:55]
	v_add_f64 v[52:53], v[14:15], v[26:27]
	v_add_f64 v[48:49], v[4:5], v[32:33]
	v_add_f64 v[50:51], v[34:35], -v[56:57]
	v_fma_f64 v[8:9], v[44:45], v[8:9], v[46:47]
	s_mov_b32 s4, 0xe8584caa
	v_fma_f64 v[4:5], v[58:59], -0.5, v[4:5]
	s_mov_b32 s5, 0xbfebb67a
	v_add_f64 v[44:45], v[12:13], v[24:25]
	v_add_f64 v[46:47], v[12:13], -v[24:25]
	v_fma_f64 v[52:53], v[52:53], -0.5, v[10:11]
	s_mov_b32 s15, 0x3febb67a
	s_mov_b32 s14, s4
	v_add_f64 v[58:59], v[6:7], v[34:35]
	v_fma_f64 v[54:55], v[50:51], s[4:5], v[4:5]
	v_add_f64 v[34:35], v[34:35], v[56:57]
	v_fma_f64 v[44:45], v[44:45], -0.5, v[8:9]
	v_add_f64 v[60:61], v[14:15], -v[26:27]
	v_fma_f64 v[50:51], v[50:51], s[14:15], v[4:5]
	v_fma_f64 v[4:5], v[46:47], s[14:15], v[52:53]
	;; [unrolled: 1-line block ×3, first 2 shown]
	v_add_f64 v[8:9], v[8:9], v[12:13]
	v_add_f64 v[10:11], v[10:11], v[14:15]
	;; [unrolled: 1-line block ×3, first 2 shown]
	v_fma_f64 v[6:7], v[34:35], -0.5, v[6:7]
	v_add_f64 v[32:33], v[32:33], -v[72:73]
	v_fma_f64 v[12:13], v[60:61], s[4:5], v[44:45]
	v_fma_f64 v[34:35], v[60:61], s[14:15], v[44:45]
	v_mul_f64 v[44:45], v[4:5], s[4:5]
	v_mul_f64 v[56:57], v[46:47], s[4:5]
	v_mul_f64 v[4:5], v[4:5], 0.5
	v_mul_f64 v[14:15], v[46:47], -0.5
	v_add_f64 v[48:49], v[48:49], v[72:73]
	v_add_f64 v[24:25], v[8:9], v[24:25]
	;; [unrolled: 1-line block ×3, first 2 shown]
	v_fma_f64 v[46:47], v[32:33], s[14:15], v[6:7]
	v_fma_f64 v[58:59], v[32:33], s[4:5], v[6:7]
	v_fma_f64 v[32:33], v[12:13], 0.5, v[44:45]
	v_fma_f64 v[44:45], v[34:35], -0.5, v[56:57]
	v_fma_f64 v[56:57], v[12:13], s[14:15], v[4:5]
	v_fma_f64 v[60:61], v[34:35], s[14:15], v[14:15]
	v_add_f64 v[4:5], v[48:49], v[24:25]
	v_add_f64 v[6:7], v[52:53], v[26:27]
	v_add_f64 v[24:25], v[48:49], -v[24:25]
	v_add_f64 v[26:27], v[52:53], -v[26:27]
	v_add_f64 v[8:9], v[54:55], v[32:33]
	v_add_f64 v[12:13], v[50:51], v[44:45]
	;; [unrolled: 1-line block ×4, first 2 shown]
	v_add_f64 v[32:33], v[54:55], -v[32:33]
	v_add_f64 v[34:35], v[46:47], -v[56:57]
	;; [unrolled: 1-line block ×4, first 2 shown]
	ds_write_b128 v181, v[4:7]
	ds_write_b128 v181, v[8:11] offset:1120
	ds_write_b128 v181, v[12:15] offset:2240
	;; [unrolled: 1-line block ×5, first 2 shown]
	s_and_saveexec_b64 s[16:17], s[2:3]
	s_cbranch_execz .LBB0_21
; %bb.20:
	v_mul_f64 v[6:7], v[18:19], v[120:121]
	v_mul_f64 v[8:9], v[38:39], v[68:69]
	;; [unrolled: 1-line block ×8, first 2 shown]
	v_fma_f64 v[6:7], v[16:17], v[122:123], -v[6:7]
	v_fma_f64 v[8:9], v[36:37], v[70:71], -v[8:9]
	v_mul_f64 v[22:23], v[22:23], v[66:67]
	v_mul_f64 v[26:27], v[42:43], v[110:111]
	v_fma_f64 v[14:15], v[16:17], v[120:121], v[14:15]
	v_fma_f64 v[16:17], v[36:37], v[68:69], v[18:19]
	v_fma_f64 v[18:19], v[40:41], v[110:111], -v[24:25]
	v_fma_f64 v[4:5], v[28:29], v[118:119], -v[4:5]
	;; [unrolled: 1-line block ×3, first 2 shown]
	v_add_f64 v[24:25], v[6:7], v[8:9]
	v_fma_f64 v[12:13], v[28:29], v[116:117], v[12:13]
	v_fma_f64 v[20:21], v[20:21], v[64:65], v[22:23]
	;; [unrolled: 1-line block ×3, first 2 shown]
	v_add_f64 v[28:29], v[14:15], v[16:17]
	v_add_f64 v[30:31], v[14:15], -v[16:17]
	v_add_f64 v[34:35], v[6:7], -v[8:9]
	v_add_f64 v[26:27], v[4:5], v[10:11]
	v_fma_f64 v[24:25], v[24:25], -0.5, v[18:19]
	v_add_f64 v[36:37], v[2:3], v[4:5]
	v_add_f64 v[6:7], v[18:19], v[6:7]
	;; [unrolled: 1-line block ×3, first 2 shown]
	v_fma_f64 v[28:29], v[28:29], -0.5, v[22:23]
	v_add_f64 v[32:33], v[12:13], -v[20:21]
	v_add_f64 v[4:5], v[4:5], -v[10:11]
	v_fma_f64 v[2:3], v[26:27], -0.5, v[2:3]
	v_fma_f64 v[38:39], v[30:31], s[4:5], v[24:25]
	v_fma_f64 v[24:25], v[30:31], s[14:15], v[24:25]
	v_add_f64 v[12:13], v[0:1], v[12:13]
	v_add_f64 v[14:15], v[22:23], v[14:15]
	;; [unrolled: 1-line block ×3, first 2 shown]
	v_fma_f64 v[10:11], v[34:35], s[14:15], v[28:29]
	v_fma_f64 v[26:27], v[34:35], s[4:5], v[28:29]
	v_add_f64 v[8:9], v[6:7], v[8:9]
	v_mul_f64 v[28:29], v[38:39], -0.5
	v_mul_f64 v[30:31], v[24:25], 0.5
	v_fma_f64 v[0:1], v[18:19], -0.5, v[0:1]
	v_mul_f64 v[6:7], v[24:25], s[4:5]
	v_fma_f64 v[18:19], v[32:33], s[4:5], v[2:3]
	v_fma_f64 v[32:33], v[32:33], s[14:15], v[2:3]
	v_mul_f64 v[2:3], v[38:39], s[4:5]
	v_add_f64 v[34:35], v[14:15], v[16:17]
	v_fma_f64 v[24:25], v[10:11], s[14:15], v[28:29]
	v_fma_f64 v[28:29], v[26:27], s[14:15], v[30:31]
	v_add_f64 v[30:31], v[12:13], v[20:21]
	v_fma_f64 v[36:37], v[4:5], s[14:15], v[0:1]
	v_fma_f64 v[0:1], v[4:5], s[4:5], v[0:1]
	v_fma_f64 v[4:5], v[26:27], 0.5, v[6:7]
	v_fma_f64 v[38:39], v[10:11], -0.5, v[2:3]
	v_add_f64 v[10:11], v[22:23], -v[8:9]
	v_add_f64 v[22:23], v[22:23], v[8:9]
	v_add_f64 v[2:3], v[18:19], -v[24:25]
	v_add_f64 v[20:21], v[30:31], v[34:35]
	v_add_f64 v[14:15], v[18:19], v[24:25]
	;; [unrolled: 1-line block ×5, first 2 shown]
	v_add_f64 v[8:9], v[30:31], -v[34:35]
	v_add_f64 v[6:7], v[32:33], -v[28:29]
	v_add_f64 v[4:5], v[0:1], -v[4:5]
	v_add_f64 v[0:1], v[36:37], -v[38:39]
	ds_write_b128 v181, v[20:23] offset:960
	ds_write_b128 v181, v[16:19] offset:2080
	;; [unrolled: 1-line block ×6, first 2 shown]
.LBB0_21:
	s_or_b64 exec, exec, s[16:17]
	s_waitcnt lgkmcnt(0)
	; wave barrier
	s_waitcnt lgkmcnt(0)
	s_and_b64 exec, exec, s[0:1]
	s_cbranch_execz .LBB0_23
; %bb.22:
	global_load_dwordx4 v[0:3], v181, s[12:13]
	global_load_dwordx4 v[4:7], v181, s[12:13] offset:672
	global_load_dwordx4 v[8:11], v181, s[12:13] offset:1344
	;; [unrolled: 1-line block ×4, first 2 shown]
	ds_read_b128 v[20:23], v181
	ds_read_b128 v[24:27], v181 offset:672
	global_load_dwordx4 v[28:31], v181, s[12:13] offset:3360
	ds_read_b128 v[32:35], v181 offset:1344
	ds_read_b128 v[36:39], v181 offset:2016
	;; [unrolled: 1-line block ×4, first 2 shown]
	global_load_dwordx4 v[48:51], v181, s[12:13] offset:4032
	v_mad_u64_u32 v[64:65], s[0:1], s10, v124, 0
	v_mad_u64_u32 v[66:67], s[2:3], s8, v182, 0
	v_mov_b32_e32 v52, s13
	v_add_co_u32_e32 v53, vcc, s12, v181
	s_movk_i32 s5, 0x1000
	v_addc_co_u32_e32 v52, vcc, 0, v52, vcc
	v_add_co_u32_e32 v68, vcc, s5, v53
	s_mul_i32 s3, s9, 0x2a0
	s_mul_hi_u32 s4, s8, 0x2a0
	v_addc_co_u32_e32 v69, vcc, 0, v52, vcc
	v_mov_b32_e32 v52, v65
	v_mov_b32_e32 v53, v67
	s_add_i32 s3, s4, s3
	v_mad_u64_u32 v[70:71], s[4:5], s11, v124, v[52:53]
	v_mad_u64_u32 v[71:72], s[4:5], s9, v182, v[53:54]
	global_load_dwordx4 v[52:55], v[68:69], off offset:608
	global_load_dwordx4 v[56:59], v[68:69], off offset:1280
	;; [unrolled: 1-line block ×3, first 2 shown]
	v_mov_b32_e32 v65, v70
	v_lshlrev_b64 v[64:65], 4, v[64:65]
	v_mov_b32_e32 v67, v71
	v_mov_b32_e32 v73, s7
	v_lshlrev_b64 v[66:67], 4, v[66:67]
	v_add_co_u32_e32 v64, vcc, s6, v64
	v_addc_co_u32_e32 v65, vcc, v73, v65, vcc
	v_add_co_u32_e32 v64, vcc, v64, v66
	s_mul_i32 s2, s8, 0x2a0
	v_addc_co_u32_e32 v65, vcc, v65, v67, vcc
	v_mov_b32_e32 v74, s3
	v_add_co_u32_e32 v66, vcc, s2, v64
	v_addc_co_u32_e32 v67, vcc, v65, v74, vcc
	v_mov_b32_e32 v75, s3
	v_add_co_u32_e32 v68, vcc, s2, v66
	;; [unrolled: 3-line block ×3, first 2 shown]
	v_addc_co_u32_e32 v71, vcc, v69, v76, vcc
	s_mov_b32 s0, 0x13813814
	s_mov_b32 s1, 0x3f638138
	s_waitcnt vmcnt(9) lgkmcnt(5)
	v_mul_f64 v[72:73], v[22:23], v[2:3]
	v_mul_f64 v[2:3], v[20:21], v[2:3]
	s_waitcnt vmcnt(8) lgkmcnt(4)
	v_mul_f64 v[74:75], v[26:27], v[6:7]
	v_mul_f64 v[6:7], v[24:25], v[6:7]
	;; [unrolled: 3-line block ×4, first 2 shown]
	v_fma_f64 v[20:21], v[20:21], v[0:1], v[72:73]
	v_fma_f64 v[2:3], v[0:1], v[22:23], -v[2:3]
	v_fma_f64 v[22:23], v[24:25], v[4:5], v[74:75]
	v_fma_f64 v[6:7], v[4:5], v[26:27], -v[6:7]
	;; [unrolled: 2-line block ×4, first 2 shown]
	v_mul_f64 v[0:1], v[20:21], s[0:1]
	v_mul_f64 v[2:3], v[2:3], s[0:1]
	;; [unrolled: 1-line block ×6, first 2 shown]
	s_waitcnt vmcnt(5) lgkmcnt(1)
	v_mul_f64 v[80:81], v[42:43], v[18:19]
	v_mul_f64 v[18:19], v[40:41], v[18:19]
	;; [unrolled: 1-line block ×4, first 2 shown]
	s_waitcnt vmcnt(4) lgkmcnt(0)
	v_mul_f64 v[20:21], v[46:47], v[30:31]
	v_mul_f64 v[22:23], v[44:45], v[30:31]
	global_store_dwordx4 v[64:65], v[0:3], off
	global_store_dwordx4 v[66:67], v[4:7], off
	;; [unrolled: 1-line block ×4, first 2 shown]
	ds_read_b128 v[0:3], v181 offset:4032
	ds_read_b128 v[4:7], v181 offset:4704
	v_fma_f64 v[32:33], v[40:41], v[16:17], v[80:81]
	v_fma_f64 v[18:19], v[16:17], v[42:43], -v[18:19]
	v_fma_f64 v[8:9], v[44:45], v[28:29], v[20:21]
	v_fma_f64 v[10:11], v[28:29], v[46:47], -v[22:23]
	s_waitcnt vmcnt(7) lgkmcnt(1)
	v_mul_f64 v[12:13], v[2:3], v[50:51]
	v_mul_f64 v[14:15], v[0:1], v[50:51]
	v_mov_b32_e32 v24, s3
	v_add_co_u32_e32 v20, vcc, s2, v70
	v_mul_f64 v[16:17], v[32:33], s[0:1]
	v_mul_f64 v[18:19], v[18:19], s[0:1]
	;; [unrolled: 1-line block ×4, first 2 shown]
	v_fma_f64 v[0:1], v[0:1], v[48:49], v[12:13]
	v_fma_f64 v[2:3], v[48:49], v[2:3], -v[14:15]
	s_waitcnt vmcnt(6) lgkmcnt(0)
	v_mul_f64 v[12:13], v[6:7], v[54:55]
	v_mul_f64 v[14:15], v[4:5], v[54:55]
	v_addc_co_u32_e32 v21, vcc, v71, v24, vcc
	global_store_dwordx4 v[20:21], v[16:19], off
	v_mul_f64 v[0:1], v[0:1], s[0:1]
	v_mov_b32_e32 v17, s3
	v_add_co_u32_e32 v16, vcc, s2, v20
	v_addc_co_u32_e32 v17, vcc, v21, v17, vcc
	global_store_dwordx4 v[16:17], v[8:11], off
	v_fma_f64 v[12:13], v[4:5], v[52:53], v[12:13]
	v_fma_f64 v[14:15], v[52:53], v[6:7], -v[14:15]
	ds_read_b128 v[4:7], v181 offset:5376
	ds_read_b128 v[8:11], v181 offset:6048
	v_mov_b32_e32 v18, s3
	v_add_co_u32_e32 v16, vcc, s2, v16
	v_mul_f64 v[2:3], v[2:3], s[0:1]
	v_addc_co_u32_e32 v17, vcc, v17, v18, vcc
	s_waitcnt vmcnt(7) lgkmcnt(1)
	v_mul_f64 v[18:19], v[6:7], v[58:59]
	v_mul_f64 v[20:21], v[4:5], v[58:59]
	s_waitcnt vmcnt(6) lgkmcnt(0)
	v_mul_f64 v[22:23], v[10:11], v[62:63]
	v_mul_f64 v[24:25], v[8:9], v[62:63]
	global_store_dwordx4 v[16:17], v[0:3], off
	s_nop 0
	v_mul_f64 v[0:1], v[12:13], s[0:1]
	v_mul_f64 v[2:3], v[14:15], s[0:1]
	v_fma_f64 v[4:5], v[4:5], v[56:57], v[18:19]
	v_fma_f64 v[6:7], v[56:57], v[6:7], -v[20:21]
	v_fma_f64 v[8:9], v[8:9], v[60:61], v[22:23]
	v_fma_f64 v[10:11], v[60:61], v[10:11], -v[24:25]
	v_mov_b32_e32 v13, s3
	v_add_co_u32_e32 v12, vcc, s2, v16
	v_addc_co_u32_e32 v13, vcc, v17, v13, vcc
	global_store_dwordx4 v[12:13], v[0:3], off
	v_mov_b32_e32 v14, s3
	v_mul_f64 v[0:1], v[4:5], s[0:1]
	v_mul_f64 v[2:3], v[6:7], s[0:1]
	;; [unrolled: 1-line block ×4, first 2 shown]
	v_add_co_u32_e32 v8, vcc, s2, v12
	v_addc_co_u32_e32 v9, vcc, v13, v14, vcc
	global_store_dwordx4 v[8:9], v[0:3], off
	s_nop 0
	v_mov_b32_e32 v1, s3
	v_add_co_u32_e32 v0, vcc, s2, v8
	v_addc_co_u32_e32 v1, vcc, v9, v1, vcc
	global_store_dwordx4 v[0:1], v[4:7], off
.LBB0_23:
	s_endpgm
	.section	.rodata,"a",@progbits
	.p2align	6, 0x0
	.amdhsa_kernel bluestein_single_back_len420_dim1_dp_op_CI_CI
		.amdhsa_group_segment_fixed_size 6720
		.amdhsa_private_segment_fixed_size 0
		.amdhsa_kernarg_size 104
		.amdhsa_user_sgpr_count 6
		.amdhsa_user_sgpr_private_segment_buffer 1
		.amdhsa_user_sgpr_dispatch_ptr 0
		.amdhsa_user_sgpr_queue_ptr 0
		.amdhsa_user_sgpr_kernarg_segment_ptr 1
		.amdhsa_user_sgpr_dispatch_id 0
		.amdhsa_user_sgpr_flat_scratch_init 0
		.amdhsa_user_sgpr_private_segment_size 0
		.amdhsa_uses_dynamic_stack 0
		.amdhsa_system_sgpr_private_segment_wavefront_offset 0
		.amdhsa_system_sgpr_workgroup_id_x 1
		.amdhsa_system_sgpr_workgroup_id_y 0
		.amdhsa_system_sgpr_workgroup_id_z 0
		.amdhsa_system_sgpr_workgroup_info 0
		.amdhsa_system_vgpr_workitem_id 0
		.amdhsa_next_free_vgpr 217
		.amdhsa_next_free_sgpr 28
		.amdhsa_reserve_vcc 1
		.amdhsa_reserve_flat_scratch 0
		.amdhsa_float_round_mode_32 0
		.amdhsa_float_round_mode_16_64 0
		.amdhsa_float_denorm_mode_32 3
		.amdhsa_float_denorm_mode_16_64 3
		.amdhsa_dx10_clamp 1
		.amdhsa_ieee_mode 1
		.amdhsa_fp16_overflow 0
		.amdhsa_exception_fp_ieee_invalid_op 0
		.amdhsa_exception_fp_denorm_src 0
		.amdhsa_exception_fp_ieee_div_zero 0
		.amdhsa_exception_fp_ieee_overflow 0
		.amdhsa_exception_fp_ieee_underflow 0
		.amdhsa_exception_fp_ieee_inexact 0
		.amdhsa_exception_int_div_zero 0
	.end_amdhsa_kernel
	.text
.Lfunc_end0:
	.size	bluestein_single_back_len420_dim1_dp_op_CI_CI, .Lfunc_end0-bluestein_single_back_len420_dim1_dp_op_CI_CI
                                        ; -- End function
	.section	.AMDGPU.csdata,"",@progbits
; Kernel info:
; codeLenInByte = 11120
; NumSgprs: 32
; NumVgprs: 217
; ScratchSize: 0
; MemoryBound: 0
; FloatMode: 240
; IeeeMode: 1
; LDSByteSize: 6720 bytes/workgroup (compile time only)
; SGPRBlocks: 3
; VGPRBlocks: 54
; NumSGPRsForWavesPerEU: 32
; NumVGPRsForWavesPerEU: 217
; Occupancy: 1
; WaveLimiterHint : 1
; COMPUTE_PGM_RSRC2:SCRATCH_EN: 0
; COMPUTE_PGM_RSRC2:USER_SGPR: 6
; COMPUTE_PGM_RSRC2:TRAP_HANDLER: 0
; COMPUTE_PGM_RSRC2:TGID_X_EN: 1
; COMPUTE_PGM_RSRC2:TGID_Y_EN: 0
; COMPUTE_PGM_RSRC2:TGID_Z_EN: 0
; COMPUTE_PGM_RSRC2:TIDIG_COMP_CNT: 0
	.type	__hip_cuid_aaca9b2a14bbfadb,@object ; @__hip_cuid_aaca9b2a14bbfadb
	.section	.bss,"aw",@nobits
	.globl	__hip_cuid_aaca9b2a14bbfadb
__hip_cuid_aaca9b2a14bbfadb:
	.byte	0                               ; 0x0
	.size	__hip_cuid_aaca9b2a14bbfadb, 1

	.ident	"AMD clang version 19.0.0git (https://github.com/RadeonOpenCompute/llvm-project roc-6.4.0 25133 c7fe45cf4b819c5991fe208aaa96edf142730f1d)"
	.section	".note.GNU-stack","",@progbits
	.addrsig
	.addrsig_sym __hip_cuid_aaca9b2a14bbfadb
	.amdgpu_metadata
---
amdhsa.kernels:
  - .args:
      - .actual_access:  read_only
        .address_space:  global
        .offset:         0
        .size:           8
        .value_kind:     global_buffer
      - .actual_access:  read_only
        .address_space:  global
        .offset:         8
        .size:           8
        .value_kind:     global_buffer
      - .actual_access:  read_only
        .address_space:  global
        .offset:         16
        .size:           8
        .value_kind:     global_buffer
      - .actual_access:  read_only
        .address_space:  global
        .offset:         24
        .size:           8
        .value_kind:     global_buffer
      - .actual_access:  read_only
        .address_space:  global
        .offset:         32
        .size:           8
        .value_kind:     global_buffer
      - .offset:         40
        .size:           8
        .value_kind:     by_value
      - .address_space:  global
        .offset:         48
        .size:           8
        .value_kind:     global_buffer
      - .address_space:  global
        .offset:         56
        .size:           8
        .value_kind:     global_buffer
      - .address_space:  global
        .offset:         64
        .size:           8
        .value_kind:     global_buffer
      - .address_space:  global
        .offset:         72
        .size:           8
        .value_kind:     global_buffer
      - .offset:         80
        .size:           4
        .value_kind:     by_value
      - .address_space:  global
        .offset:         88
        .size:           8
        .value_kind:     global_buffer
      - .address_space:  global
        .offset:         96
        .size:           8
        .value_kind:     global_buffer
    .group_segment_fixed_size: 6720
    .kernarg_segment_align: 8
    .kernarg_segment_size: 104
    .language:       OpenCL C
    .language_version:
      - 2
      - 0
    .max_flat_workgroup_size: 60
    .name:           bluestein_single_back_len420_dim1_dp_op_CI_CI
    .private_segment_fixed_size: 0
    .sgpr_count:     32
    .sgpr_spill_count: 0
    .symbol:         bluestein_single_back_len420_dim1_dp_op_CI_CI.kd
    .uniform_work_group_size: 1
    .uses_dynamic_stack: false
    .vgpr_count:     217
    .vgpr_spill_count: 0
    .wavefront_size: 64
amdhsa.target:   amdgcn-amd-amdhsa--gfx906
amdhsa.version:
  - 1
  - 2
...

	.end_amdgpu_metadata
